;; amdgpu-corpus repo=ROCm/rocFFT kind=compiled arch=gfx950 opt=O3
	.text
	.amdgcn_target "amdgcn-amd-amdhsa--gfx950"
	.amdhsa_code_object_version 6
	.protected	fft_rtc_fwd_len1820_factors_10_13_7_2_wgs_182_tpt_182_halfLds_dp_op_CI_CI_unitstride_sbrr_C2R_dirReg ; -- Begin function fft_rtc_fwd_len1820_factors_10_13_7_2_wgs_182_tpt_182_halfLds_dp_op_CI_CI_unitstride_sbrr_C2R_dirReg
	.globl	fft_rtc_fwd_len1820_factors_10_13_7_2_wgs_182_tpt_182_halfLds_dp_op_CI_CI_unitstride_sbrr_C2R_dirReg
	.p2align	8
	.type	fft_rtc_fwd_len1820_factors_10_13_7_2_wgs_182_tpt_182_halfLds_dp_op_CI_CI_unitstride_sbrr_C2R_dirReg,@function
fft_rtc_fwd_len1820_factors_10_13_7_2_wgs_182_tpt_182_halfLds_dp_op_CI_CI_unitstride_sbrr_C2R_dirReg: ; @fft_rtc_fwd_len1820_factors_10_13_7_2_wgs_182_tpt_182_halfLds_dp_op_CI_CI_unitstride_sbrr_C2R_dirReg
; %bb.0:
	s_load_dwordx4 s[4:7], s[0:1], 0x58
	s_load_dwordx4 s[8:11], s[0:1], 0x0
	;; [unrolled: 1-line block ×3, first 2 shown]
	v_mul_u32_u24_e32 v1, 0x169, v0
	v_add_u32_sdwa v6, s2, v1 dst_sel:DWORD dst_unused:UNUSED_PAD src0_sel:DWORD src1_sel:WORD_1
	v_mov_b32_e32 v4, 0
	s_waitcnt lgkmcnt(0)
	v_cmp_lt_u64_e64 s[2:3], s[10:11], 2
	v_mov_b32_e32 v7, v4
	s_and_b64 vcc, exec, s[2:3]
	v_mov_b64_e32 v[2:3], 0
	s_cbranch_vccnz .LBB0_8
; %bb.1:
	s_load_dwordx2 s[2:3], s[0:1], 0x10
	s_add_u32 s16, s14, 8
	s_addc_u32 s17, s15, 0
	s_add_u32 s18, s12, 8
	s_addc_u32 s19, s13, 0
	s_waitcnt lgkmcnt(0)
	s_add_u32 s20, s2, 8
	v_mov_b64_e32 v[2:3], 0
	s_addc_u32 s21, s3, 0
	s_mov_b64 s[22:23], 1
	v_mov_b64_e32 v[56:57], v[2:3]
.LBB0_2:                                ; =>This Inner Loop Header: Depth=1
	s_load_dwordx2 s[24:25], s[20:21], 0x0
                                        ; implicit-def: $vgpr58_vgpr59
	s_waitcnt lgkmcnt(0)
	v_or_b32_e32 v5, s25, v7
	v_cmp_ne_u64_e32 vcc, 0, v[4:5]
	s_and_saveexec_b64 s[2:3], vcc
	s_xor_b64 s[26:27], exec, s[2:3]
	s_cbranch_execz .LBB0_4
; %bb.3:                                ;   in Loop: Header=BB0_2 Depth=1
	v_cvt_f32_u32_e32 v1, s24
	v_cvt_f32_u32_e32 v5, s25
	s_sub_u32 s2, 0, s24
	s_subb_u32 s3, 0, s25
	v_fmac_f32_e32 v1, 0x4f800000, v5
	v_rcp_f32_e32 v1, v1
	s_nop 0
	v_mul_f32_e32 v1, 0x5f7ffffc, v1
	v_mul_f32_e32 v5, 0x2f800000, v1
	v_trunc_f32_e32 v5, v5
	v_fmac_f32_e32 v1, 0xcf800000, v5
	v_cvt_u32_f32_e32 v5, v5
	v_cvt_u32_f32_e32 v1, v1
	v_mul_lo_u32 v8, s2, v5
	v_mul_hi_u32 v10, s2, v1
	v_mul_lo_u32 v9, s3, v1
	v_add_u32_e32 v10, v10, v8
	v_mul_lo_u32 v12, s2, v1
	v_add_u32_e32 v13, v10, v9
	v_mul_hi_u32 v8, v1, v12
	v_mul_hi_u32 v11, v1, v13
	v_mul_lo_u32 v10, v1, v13
	v_mov_b32_e32 v9, v4
	v_lshl_add_u64 v[8:9], v[8:9], 0, v[10:11]
	v_mul_hi_u32 v11, v5, v12
	v_mul_lo_u32 v12, v5, v12
	v_add_co_u32_e32 v8, vcc, v8, v12
	v_mul_hi_u32 v10, v5, v13
	s_nop 0
	v_addc_co_u32_e32 v8, vcc, v9, v11, vcc
	v_mov_b32_e32 v9, v4
	s_nop 0
	v_addc_co_u32_e32 v11, vcc, 0, v10, vcc
	v_mul_lo_u32 v10, v5, v13
	v_lshl_add_u64 v[8:9], v[8:9], 0, v[10:11]
	v_add_co_u32_e32 v1, vcc, v1, v8
	v_mul_lo_u32 v10, s2, v1
	s_nop 0
	v_addc_co_u32_e32 v5, vcc, v5, v9, vcc
	v_mul_lo_u32 v8, s2, v5
	v_mul_hi_u32 v9, s2, v1
	v_add_u32_e32 v8, v9, v8
	v_mul_lo_u32 v9, s3, v1
	v_add_u32_e32 v12, v8, v9
	v_mul_hi_u32 v14, v5, v10
	v_mul_lo_u32 v15, v5, v10
	v_mul_hi_u32 v9, v1, v12
	v_mul_lo_u32 v8, v1, v12
	v_mul_hi_u32 v10, v1, v10
	v_mov_b32_e32 v11, v4
	v_lshl_add_u64 v[8:9], v[10:11], 0, v[8:9]
	v_add_co_u32_e32 v8, vcc, v8, v15
	v_mul_hi_u32 v13, v5, v12
	s_nop 0
	v_addc_co_u32_e32 v8, vcc, v9, v14, vcc
	v_mul_lo_u32 v10, v5, v12
	s_nop 0
	v_addc_co_u32_e32 v11, vcc, 0, v13, vcc
	v_mov_b32_e32 v9, v4
	v_lshl_add_u64 v[8:9], v[8:9], 0, v[10:11]
	v_add_co_u32_e32 v1, vcc, v1, v8
	v_mul_hi_u32 v10, v6, v1
	s_nop 0
	v_addc_co_u32_e32 v5, vcc, v5, v9, vcc
	v_mad_u64_u32 v[8:9], s[2:3], v6, v5, 0
	v_mov_b32_e32 v11, v4
	v_lshl_add_u64 v[8:9], v[10:11], 0, v[8:9]
	v_mad_u64_u32 v[12:13], s[2:3], v7, v1, 0
	v_add_co_u32_e32 v1, vcc, v8, v12
	v_mad_u64_u32 v[10:11], s[2:3], v7, v5, 0
	s_nop 0
	v_addc_co_u32_e32 v8, vcc, v9, v13, vcc
	v_mov_b32_e32 v9, v4
	s_nop 0
	v_addc_co_u32_e32 v11, vcc, 0, v11, vcc
	v_lshl_add_u64 v[8:9], v[8:9], 0, v[10:11]
	v_mul_lo_u32 v1, s25, v8
	v_mul_lo_u32 v5, s24, v9
	v_mad_u64_u32 v[10:11], s[2:3], s24, v8, 0
	v_add3_u32 v1, v11, v5, v1
	v_sub_u32_e32 v5, v7, v1
	v_mov_b32_e32 v11, s25
	v_sub_co_u32_e32 v14, vcc, v6, v10
	v_lshl_add_u64 v[12:13], v[8:9], 0, 1
	s_nop 0
	v_subb_co_u32_e64 v5, s[2:3], v5, v11, vcc
	v_subrev_co_u32_e64 v10, s[2:3], s24, v14
	v_subb_co_u32_e32 v1, vcc, v7, v1, vcc
	s_nop 0
	v_subbrev_co_u32_e64 v5, s[2:3], 0, v5, s[2:3]
	v_cmp_le_u32_e64 s[2:3], s25, v5
	v_cmp_le_u32_e32 vcc, s25, v1
	s_nop 0
	v_cndmask_b32_e64 v11, 0, -1, s[2:3]
	v_cmp_le_u32_e64 s[2:3], s24, v10
	s_nop 1
	v_cndmask_b32_e64 v10, 0, -1, s[2:3]
	v_cmp_eq_u32_e64 s[2:3], s25, v5
	s_nop 1
	v_cndmask_b32_e64 v5, v11, v10, s[2:3]
	v_lshl_add_u64 v[10:11], v[8:9], 0, 2
	v_cmp_ne_u32_e64 s[2:3], 0, v5
	s_nop 1
	v_cndmask_b32_e64 v5, v13, v11, s[2:3]
	v_cndmask_b32_e64 v11, 0, -1, vcc
	v_cmp_le_u32_e32 vcc, s24, v14
	s_nop 1
	v_cndmask_b32_e64 v13, 0, -1, vcc
	v_cmp_eq_u32_e32 vcc, s25, v1
	s_nop 1
	v_cndmask_b32_e32 v1, v11, v13, vcc
	v_cmp_ne_u32_e32 vcc, 0, v1
	v_cndmask_b32_e64 v1, v12, v10, s[2:3]
	s_nop 0
	v_cndmask_b32_e32 v59, v9, v5, vcc
	v_cndmask_b32_e32 v58, v8, v1, vcc
.LBB0_4:                                ;   in Loop: Header=BB0_2 Depth=1
	s_andn2_saveexec_b64 s[2:3], s[26:27]
	s_cbranch_execz .LBB0_6
; %bb.5:                                ;   in Loop: Header=BB0_2 Depth=1
	v_cvt_f32_u32_e32 v1, s24
	s_sub_i32 s26, 0, s24
	v_mov_b32_e32 v59, v4
	v_rcp_iflag_f32_e32 v1, v1
	s_nop 0
	v_mul_f32_e32 v1, 0x4f7ffffe, v1
	v_cvt_u32_f32_e32 v1, v1
	v_mul_lo_u32 v5, s26, v1
	v_mul_hi_u32 v5, v1, v5
	v_add_u32_e32 v1, v1, v5
	v_mul_hi_u32 v1, v6, v1
	v_mul_lo_u32 v5, v1, s24
	v_sub_u32_e32 v5, v6, v5
	v_add_u32_e32 v8, 1, v1
	v_subrev_u32_e32 v9, s24, v5
	v_cmp_le_u32_e32 vcc, s24, v5
	s_nop 1
	v_cndmask_b32_e32 v5, v5, v9, vcc
	v_cndmask_b32_e32 v1, v1, v8, vcc
	v_add_u32_e32 v8, 1, v1
	v_cmp_le_u32_e32 vcc, s24, v5
	s_nop 1
	v_cndmask_b32_e32 v58, v1, v8, vcc
.LBB0_6:                                ;   in Loop: Header=BB0_2 Depth=1
	s_or_b64 exec, exec, s[2:3]
	v_mad_u64_u32 v[8:9], s[2:3], v58, s24, 0
	s_load_dwordx2 s[2:3], s[18:19], 0x0
	v_mul_lo_u32 v1, v59, s24
	v_mul_lo_u32 v5, v58, s25
	s_load_dwordx2 s[24:25], s[16:17], 0x0
	s_add_u32 s22, s22, 1
	v_add3_u32 v1, v9, v5, v1
	v_sub_co_u32_e32 v5, vcc, v6, v8
	s_addc_u32 s23, s23, 0
	s_nop 0
	v_subb_co_u32_e32 v1, vcc, v7, v1, vcc
	s_add_u32 s16, s16, 8
	s_waitcnt lgkmcnt(0)
	v_mul_lo_u32 v6, s2, v1
	v_mul_lo_u32 v7, s3, v5
	v_mad_u64_u32 v[2:3], s[2:3], s2, v5, v[2:3]
	s_addc_u32 s17, s17, 0
	v_add3_u32 v3, v7, v3, v6
	v_mul_lo_u32 v1, s24, v1
	v_mul_lo_u32 v6, s25, v5
	v_mad_u64_u32 v[56:57], s[2:3], s24, v5, v[56:57]
	s_add_u32 s18, s18, 8
	v_add3_u32 v57, v6, v57, v1
	s_addc_u32 s19, s19, 0
	v_mov_b64_e32 v[6:7], s[10:11]
	s_add_u32 s20, s20, 8
	v_cmp_ge_u64_e32 vcc, s[22:23], v[6:7]
	s_addc_u32 s21, s21, 0
	s_cbranch_vccnz .LBB0_9
; %bb.7:                                ;   in Loop: Header=BB0_2 Depth=1
	v_mov_b64_e32 v[6:7], v[58:59]
	s_branch .LBB0_2
.LBB0_8:
	v_mov_b64_e32 v[56:57], v[2:3]
	v_mov_b64_e32 v[58:59], v[6:7]
.LBB0_9:
	s_load_dwordx2 s[2:3], s[0:1], 0x28
	s_lshl_b64 s[16:17], s[10:11], 3
	s_add_u32 s10, s14, s16
	s_addc_u32 s11, s15, s17
                                        ; implicit-def: $vgpr60
                                        ; implicit-def: $agpr0_agpr1
	s_waitcnt lgkmcnt(0)
	v_cmp_gt_u64_e64 s[0:1], s[2:3], v[58:59]
	v_cmp_le_u64_e32 vcc, s[2:3], v[58:59]
	s_and_saveexec_b64 s[2:3], vcc
	s_xor_b64 s[2:3], exec, s[2:3]
; %bb.10:
	s_mov_b32 s14, 0x1681682
	v_mul_hi_u32 v1, v0, s14
	v_mul_u32_u24_e32 v1, 0xb6, v1
	v_sub_u32_e32 v60, v0, v1
	v_mov_b32_e32 v61, 0
	v_accvgpr_write_b32 a0, v60
	v_accvgpr_write_b32 a1, v61
                                        ; implicit-def: $vgpr0
                                        ; implicit-def: $vgpr2_vgpr3
; %bb.11:
	s_or_saveexec_b64 s[2:3], s[2:3]
	s_load_dwordx2 s[10:11], s[10:11], 0x0
	s_xor_b64 exec, exec, s[2:3]
	s_cbranch_execz .LBB0_15
; %bb.12:
	s_add_u32 s12, s12, s16
	s_addc_u32 s13, s13, s17
	s_load_dwordx2 s[12:13], s[12:13], 0x0
	s_mov_b32 s14, 0x1681682
	v_mov_b32_e32 v61, 0
	v_mov_b32_e32 v43, v61
	s_waitcnt lgkmcnt(0)
	v_mul_lo_u32 v1, s13, v58
	v_mul_lo_u32 v6, s12, v59
	v_mad_u64_u32 v[4:5], s[12:13], s12, v58, 0
	v_add3_u32 v5, v5, v6, v1
	v_mul_hi_u32 v1, v0, s14
	v_mul_u32_u24_e32 v1, 0xb6, v1
	v_sub_u32_e32 v60, v0, v1
	v_lshl_add_u64 v[0:1], v[4:5], 4, s[4:5]
	v_lshl_add_u64 v[0:1], v[2:3], 4, v[0:1]
	v_lshlrev_b32_e32 v42, 4, v60
	v_lshl_add_u64 v[34:35], v[0:1], 0, v[42:43]
	s_movk_i32 s4, 0x1000
	v_add_co_u32_e32 v18, vcc, s4, v34
	s_movk_i32 s4, 0x2000
	s_nop 0
	v_addc_co_u32_e32 v19, vcc, 0, v35, vcc
	v_add_co_u32_e32 v26, vcc, s4, v34
	s_movk_i32 s4, 0x3000
	s_nop 0
	v_addc_co_u32_e32 v27, vcc, 0, v35, vcc
	;; [unrolled: 4-line block ×3, first 2 shown]
	v_add_co_u32_e32 v36, vcc, s4, v34
	global_load_dwordx4 v[2:5], v[34:35], off
	global_load_dwordx4 v[6:9], v[34:35], off offset:2912
	v_addc_co_u32_e32 v37, vcc, 0, v35, vcc
	v_add_co_u32_e32 v44, vcc, 0x5000, v34
	global_load_dwordx4 v[10:13], v[18:19], off offset:1728
	global_load_dwordx4 v[14:17], v[26:27], off offset:544
	v_addc_co_u32_e32 v45, vcc, 0, v35, vcc
	v_add_co_u32_e32 v46, vcc, 0x6000, v34
	global_load_dwordx4 v[18:21], v[26:27], off offset:3456
	global_load_dwordx4 v[22:25], v[28:29], off offset:2272
	s_nop 0
	global_load_dwordx4 v[26:29], v[36:37], off offset:1088
	global_load_dwordx4 v[30:33], v[36:37], off offset:4000
	v_addc_co_u32_e32 v47, vcc, 0, v35, vcc
	global_load_dwordx4 v[34:37], v[44:45], off offset:2816
	global_load_dwordx4 v[38:41], v[46:47], off offset:1632
	s_movk_i32 s4, 0xb5
	v_accvgpr_write_b32 a0, v60
	v_cmp_eq_u32_e32 vcc, s4, v60
	v_add_u32_e32 v42, 0, v42
	v_accvgpr_write_b32 a1, v61
	s_waitcnt vmcnt(9)
	ds_write_b128 v42, v[2:5]
	s_waitcnt vmcnt(8)
	ds_write_b128 v42, v[6:9] offset:2912
	s_waitcnt vmcnt(7)
	ds_write_b128 v42, v[10:13] offset:5824
	;; [unrolled: 2-line block ×9, first 2 shown]
	s_and_saveexec_b64 s[4:5], vcc
	s_cbranch_execz .LBB0_14
; %bb.13:
	v_add_co_u32_e32 v0, vcc, 0x7000, v0
	v_mov_b32_e32 v60, 0xb5
	s_nop 0
	v_addc_co_u32_e32 v1, vcc, 0, v1, vcc
	global_load_dwordx4 v[0:3], v[0:1], off offset:448
	s_waitcnt vmcnt(0)
	ds_write_b128 v61, v[0:3] offset:29120
	v_mov_b64_e32 v[0:1], 0xb5
	v_accvgpr_write_b32 a0, v0
	v_accvgpr_write_b32 a1, v1
.LBB0_14:
	s_or_b64 exec, exec, s[4:5]
.LBB0_15:
	s_or_b64 exec, exec, s[2:3]
	v_lshlrev_b32_e32 v0, 4, v60
	v_add_u32_e32 v252, 0, v0
	s_waitcnt lgkmcnt(0)
	s_barrier
	v_sub_u32_e32 v12, 0, v0
	ds_read_b64 v[4:5], v252
	ds_read_b64 v[6:7], v12 offset:29120
	s_add_u32 s2, s8, 0x7120
	s_addc_u32 s3, s9, 0
	v_cmp_ne_u32_e32 vcc, 0, v60
	s_waitcnt lgkmcnt(0)
	v_add_f64 v[0:1], v[4:5], v[6:7]
	v_add_f64 v[2:3], v[4:5], -v[6:7]
	s_and_saveexec_b64 s[4:5], vcc
	s_xor_b64 s[4:5], exec, s[4:5]
	s_cbranch_execz .LBB0_17
; %bb.16:
	v_accvgpr_read_b32 v0, a0
	v_accvgpr_read_b32 v1, a1
	v_lshl_add_u64 v[0:1], v[0:1], 4, s[2:3]
	global_load_dwordx4 v[8:11], v[0:1], off
	ds_read_b64 v[0:1], v12 offset:29128
	ds_read_b64 v[2:3], v252 offset:8
	v_add_f64 v[14:15], v[4:5], v[6:7]
	v_add_f64 v[16:17], v[4:5], -v[6:7]
	s_waitcnt lgkmcnt(0)
	v_add_f64 v[18:19], v[0:1], v[2:3]
	v_add_f64 v[0:1], v[2:3], -v[0:1]
	s_waitcnt vmcnt(0)
	v_fma_f64 v[4:5], -v[16:17], v[10:11], v[14:15]
	v_fma_f64 v[6:7], v[18:19], v[10:11], -v[0:1]
	v_fma_f64 v[20:21], v[16:17], v[10:11], v[14:15]
	v_fma_f64 v[2:3], v[18:19], v[10:11], v[0:1]
	v_fmac_f64_e32 v[4:5], v[18:19], v[8:9]
	v_fmac_f64_e32 v[6:7], v[16:17], v[8:9]
	v_fma_f64 v[0:1], -v[18:19], v[8:9], v[20:21]
	v_fmac_f64_e32 v[2:3], v[16:17], v[8:9]
	ds_write_b128 v12, v[4:7] offset:29120
.LBB0_17:
	s_andn2_saveexec_b64 s[4:5], s[4:5]
	s_cbranch_execz .LBB0_19
; %bb.18:
	v_mov_b32_e32 v8, 0
	ds_read_b128 v[4:7], v8 offset:14560
	s_waitcnt lgkmcnt(0)
	v_add_f64 v[4:5], v[4:5], v[4:5]
	v_mul_f64 v[6:7], v[6:7], -2.0
	ds_write_b128 v8, v[4:7] offset:14560
.LBB0_19:
	s_or_b64 exec, exec, s[4:5]
	v_mov_b32_e32 v61, 0
	v_lshl_add_u64 v[8:9], v[60:61], 4, s[2:3]
	global_load_dwordx4 v[14:17], v[8:9], off offset:2912
	s_movk_i32 s2, 0x1000
	v_add_co_u32_e32 v4, vcc, s2, v8
	s_movk_i32 s2, 0x2000
	s_nop 0
	v_addc_co_u32_e32 v5, vcc, 0, v9, vcc
	global_load_dwordx4 v[4:7], v[4:5], off offset:1728
	v_add_co_u32_e32 v22, vcc, s2, v8
	s_mov_b32 s4, 0x134454ff
	s_nop 0
	v_addc_co_u32_e32 v23, vcc, 0, v9, vcc
	global_load_dwordx4 v[8:11], v[22:23], off offset:544
	global_load_dwordx4 v[18:21], v[22:23], off offset:3456
	ds_write_b128 v252, v[0:3]
	ds_read_b128 v[0:3], v252 offset:2912
	ds_read_b128 v[22:25], v12 offset:26208
	s_mov_b32 s5, 0x3fee6f0e
	s_mov_b32 s2, 0x4755a5e
	;; [unrolled: 1-line block ×4, first 2 shown]
	s_waitcnt lgkmcnt(0)
	v_add_f64 v[26:27], v[0:1], v[22:23]
	v_add_f64 v[28:29], v[24:25], v[2:3]
	v_add_f64 v[30:31], v[0:1], -v[22:23]
	v_add_f64 v[0:1], v[2:3], -v[24:25]
	s_mov_b32 s3, 0x3fe2cf23
	s_mov_b32 s12, 0x372fe950
	;; [unrolled: 1-line block ×7, first 2 shown]
	s_waitcnt vmcnt(3)
	v_fma_f64 v[32:33], v[30:31], v[16:17], v[26:27]
	v_fma_f64 v[2:3], v[28:29], v[16:17], v[0:1]
	v_fma_f64 v[22:23], -v[30:31], v[16:17], v[26:27]
	v_fma_f64 v[24:25], v[28:29], v[16:17], -v[0:1]
	v_fma_f64 v[0:1], -v[28:29], v[14:15], v[32:33]
	v_fmac_f64_e32 v[2:3], v[30:31], v[14:15]
	v_fmac_f64_e32 v[22:23], v[28:29], v[14:15]
	v_fmac_f64_e32 v[24:25], v[30:31], v[14:15]
	ds_write_b128 v252, v[0:3] offset:2912
	ds_write_b128 v12, v[22:25] offset:26208
	ds_read_b128 v[0:3], v252 offset:5824
	ds_read_b128 v[14:17], v12 offset:23296
	s_waitcnt lgkmcnt(0)
	v_add_f64 v[22:23], v[0:1], v[14:15]
	v_add_f64 v[24:25], v[16:17], v[2:3]
	v_add_f64 v[26:27], v[0:1], -v[14:15]
	v_add_f64 v[0:1], v[2:3], -v[16:17]
	s_waitcnt vmcnt(2)
	v_fma_f64 v[28:29], v[26:27], v[6:7], v[22:23]
	v_fma_f64 v[2:3], v[24:25], v[6:7], v[0:1]
	v_fma_f64 v[14:15], -v[26:27], v[6:7], v[22:23]
	v_fma_f64 v[16:17], v[24:25], v[6:7], -v[0:1]
	v_fma_f64 v[0:1], -v[24:25], v[4:5], v[28:29]
	v_fmac_f64_e32 v[2:3], v[26:27], v[4:5]
	v_fmac_f64_e32 v[14:15], v[24:25], v[4:5]
	v_fmac_f64_e32 v[16:17], v[26:27], v[4:5]
	ds_write_b128 v252, v[0:3] offset:5824
	ds_write_b128 v12, v[14:17] offset:23296
	ds_read_b128 v[0:3], v252 offset:8736
	ds_read_b128 v[4:7], v12 offset:20384
	s_waitcnt lgkmcnt(0)
	v_add_f64 v[14:15], v[0:1], v[4:5]
	v_add_f64 v[16:17], v[6:7], v[2:3]
	v_add_f64 v[22:23], v[0:1], -v[4:5]
	v_add_f64 v[0:1], v[2:3], -v[6:7]
	;; [unrolled: 18-line block ×3, first 2 shown]
	s_waitcnt vmcnt(0)
	v_fma_f64 v[16:17], v[14:15], v[20:21], v[8:9]
	v_fma_f64 v[2:3], v[10:11], v[20:21], v[0:1]
	v_fma_f64 v[6:7], v[10:11], v[20:21], -v[0:1]
	v_fma_f64 v[4:5], -v[14:15], v[20:21], v[8:9]
	v_fma_f64 v[0:1], -v[10:11], v[18:19], v[16:17]
	v_fmac_f64_e32 v[2:3], v[14:15], v[18:19]
	v_fmac_f64_e32 v[6:7], v[14:15], v[18:19]
	;; [unrolled: 1-line block ×3, first 2 shown]
	ds_write_b128 v252, v[0:3] offset:11648
	ds_write_b128 v12, v[4:7] offset:17472
	s_waitcnt lgkmcnt(0)
	s_barrier
	s_barrier
	ds_read_b128 v[32:35], v252
	ds_read_b128 v[6:9], v252 offset:2912
	ds_read_b128 v[0:3], v252 offset:5824
	;; [unrolled: 1-line block ×9, first 2 shown]
	s_waitcnt lgkmcnt(5)
	v_add_f64 v[48:49], v[0:1], -v[14:15]
	s_waitcnt lgkmcnt(3)
	v_add_f64 v[30:31], v[14:15], v[22:23]
	s_waitcnt lgkmcnt(2)
	v_add_f64 v[44:45], v[2:3], -v[28:29]
	v_add_f64 v[50:51], v[26:27], -v[22:23]
	v_fma_f64 v[30:31], -0.5, v[30:31], v[32:33]
	v_add_f64 v[46:47], v[16:17], -v[24:25]
	v_add_f64 v[48:49], v[48:49], v[50:51]
	v_fma_f64 v[50:51], s[4:5], v[44:45], v[30:31]
	v_fmac_f64_e32 v[30:31], s[16:17], v[44:45]
	v_fmac_f64_e32 v[50:51], s[2:3], v[46:47]
	;; [unrolled: 1-line block ×5, first 2 shown]
	v_add_f64 v[48:49], v[0:1], v[26:27]
	v_add_f64 v[4:5], v[32:33], v[0:1]
	v_fmac_f64_e32 v[32:33], -0.5, v[48:49]
	v_fma_f64 v[48:49], s[16:17], v[46:47], v[32:33]
	v_add_f64 v[52:53], v[14:15], -v[0:1]
	v_add_f64 v[54:55], v[22:23], -v[26:27]
	v_fmac_f64_e32 v[32:33], s[4:5], v[46:47]
	v_fmac_f64_e32 v[48:49], s[2:3], v[44:45]
	v_add_f64 v[52:53], v[52:53], v[54:55]
	v_fmac_f64_e32 v[32:33], s[14:15], v[44:45]
	v_add_f64 v[44:45], v[16:17], v[24:25]
	v_fmac_f64_e32 v[48:49], s[12:13], v[52:53]
	v_fmac_f64_e32 v[32:33], s[12:13], v[52:53]
	v_fma_f64 v[44:45], -0.5, v[44:45], v[34:35]
	v_add_f64 v[0:1], v[0:1], -v[26:27]
	v_add_f64 v[46:47], v[2:3], -v[16:17]
	;; [unrolled: 1-line block ×4, first 2 shown]
	v_add_f64 v[4:5], v[4:5], v[14:15]
	v_add_f64 v[14:15], v[34:35], v[2:3]
	;; [unrolled: 1-line block ×3, first 2 shown]
	v_fma_f64 v[52:53], s[16:17], v[0:1], v[44:45]
	v_fmac_f64_e32 v[44:45], s[4:5], v[0:1]
	v_add_f64 v[14:15], v[14:15], v[16:17]
	v_add_f64 v[16:17], v[16:17], -v[2:3]
	v_add_f64 v[2:3], v[2:3], v[28:29]
	v_fmac_f64_e32 v[52:53], s[14:15], v[54:55]
	v_fmac_f64_e32 v[44:45], s[2:3], v[54:55]
	v_fmac_f64_e32 v[34:35], -0.5, v[2:3]
	v_fmac_f64_e32 v[52:53], s[12:13], v[46:47]
	v_fmac_f64_e32 v[44:45], s[12:13], v[46:47]
	v_fma_f64 v[46:47], s[4:5], v[54:55], v[34:35]
	v_add_f64 v[2:3], v[24:25], -v[28:29]
	v_fmac_f64_e32 v[34:35], s[16:17], v[54:55]
	v_add_f64 v[4:5], v[4:5], v[22:23]
	v_fmac_f64_e32 v[46:47], s[14:15], v[0:1]
	v_add_f64 v[2:3], v[16:17], v[2:3]
	v_fmac_f64_e32 v[34:35], s[2:3], v[0:1]
	v_add_f64 v[22:23], v[4:5], v[26:27]
	v_add_f64 v[4:5], v[14:15], v[24:25]
	v_fmac_f64_e32 v[46:47], s[12:13], v[2:3]
	v_fmac_f64_e32 v[34:35], s[12:13], v[2:3]
	s_waitcnt lgkmcnt(1)
	v_add_f64 v[2:3], v[18:19], v[36:37]
	v_add_f64 v[14:15], v[4:5], v[28:29]
	v_fma_f64 v[2:3], -0.5, v[2:3], v[6:7]
	s_waitcnt lgkmcnt(0)
	v_add_f64 v[4:5], v[12:13], -v[42:43]
	v_fma_f64 v[16:17], s[4:5], v[4:5], v[2:3]
	v_add_f64 v[24:25], v[20:21], -v[38:39]
	v_add_f64 v[26:27], v[10:11], -v[18:19]
	;; [unrolled: 1-line block ×3, first 2 shown]
	v_fmac_f64_e32 v[2:3], s[16:17], v[4:5]
	v_fmac_f64_e32 v[16:17], s[2:3], v[24:25]
	v_add_f64 v[26:27], v[26:27], v[28:29]
	v_fmac_f64_e32 v[2:3], s[14:15], v[24:25]
	v_fmac_f64_e32 v[16:17], s[12:13], v[26:27]
	;; [unrolled: 1-line block ×3, first 2 shown]
	v_add_f64 v[26:27], v[10:11], v[40:41]
	v_add_f64 v[0:1], v[6:7], v[10:11]
	v_fmac_f64_e32 v[6:7], -0.5, v[26:27]
	v_fma_f64 v[26:27], s[16:17], v[24:25], v[6:7]
	v_add_f64 v[28:29], v[18:19], -v[10:11]
	v_add_f64 v[54:55], v[36:37], -v[40:41]
	v_fmac_f64_e32 v[6:7], s[4:5], v[24:25]
	v_fmac_f64_e32 v[26:27], s[2:3], v[4:5]
	v_add_f64 v[28:29], v[28:29], v[54:55]
	v_fmac_f64_e32 v[6:7], s[14:15], v[4:5]
	v_add_f64 v[4:5], v[20:21], v[38:39]
	v_fmac_f64_e32 v[26:27], s[12:13], v[28:29]
	v_fmac_f64_e32 v[6:7], s[12:13], v[28:29]
	v_fma_f64 v[24:25], -0.5, v[4:5], v[8:9]
	v_add_f64 v[4:5], v[10:11], -v[40:41]
	v_add_f64 v[10:11], v[12:13], -v[20:21]
	;; [unrolled: 1-line block ×3, first 2 shown]
	v_add_f64 v[10:11], v[10:11], v[28:29]
	v_fma_f64 v[28:29], s[16:17], v[4:5], v[24:25]
	v_add_f64 v[54:55], v[18:19], -v[36:37]
	v_fmac_f64_e32 v[24:25], s[4:5], v[4:5]
	v_fmac_f64_e32 v[28:29], s[14:15], v[54:55]
	;; [unrolled: 1-line block ×5, first 2 shown]
	v_add_f64 v[0:1], v[0:1], v[18:19]
	v_add_f64 v[10:11], v[8:9], v[12:13]
	;; [unrolled: 1-line block ×4, first 2 shown]
	v_add_f64 v[18:19], v[20:21], -v[12:13]
	v_add_f64 v[20:21], v[0:1], v[40:41]
	v_add_f64 v[0:1], v[10:11], v[38:39]
	;; [unrolled: 1-line block ×4, first 2 shown]
	v_fmac_f64_e32 v[8:9], -0.5, v[0:1]
	v_fma_f64 v[12:13], s[4:5], v[54:55], v[8:9]
	v_add_f64 v[0:1], v[38:39], -v[42:43]
	v_fmac_f64_e32 v[8:9], s[16:17], v[54:55]
	v_add_f64 v[0:1], v[18:19], v[0:1]
	v_fmac_f64_e32 v[8:9], s[2:3], v[4:5]
	v_fmac_f64_e32 v[8:9], s[12:13], v[0:1]
	v_mul_f64 v[18:19], v[6:7], s[12:13]
	v_fmac_f64_e32 v[12:13], s[14:15], v[4:5]
	v_fma_f64 v[40:41], v[8:9], s[4:5], -v[18:19]
	v_mul_f64 v[8:9], v[8:9], s[12:13]
	v_fmac_f64_e32 v[12:13], s[12:13], v[0:1]
	v_mul_f64 v[36:37], v[16:17], s[18:19]
	v_fma_f64 v[42:43], v[6:7], s[16:17], -v[8:9]
	v_mul_f64 v[6:7], v[2:3], s[18:19]
	v_fmac_f64_e32 v[36:37], s[2:3], v[28:29]
	v_mul_f64 v[38:39], v[12:13], s[4:5]
	v_mul_f64 v[54:55], v[16:17], s[14:15]
	v_fma_f64 v[64:65], v[24:25], s[2:3], -v[6:7]
	v_mul_f64 v[66:67], v[26:27], s[16:17]
	v_mul_f64 v[6:7], v[24:25], s[18:19]
	s_movk_i32 s2, 0x90
	v_fmac_f64_e32 v[38:39], s[12:13], v[26:27]
	v_fmac_f64_e32 v[54:55], s[18:19], v[28:29]
	;; [unrolled: 1-line block ×3, first 2 shown]
	v_fma_f64 v[68:69], v[2:3], s[14:15], -v[6:7]
	v_add_f64 v[12:13], v[32:33], v[40:41]
	v_add_f64 v[32:33], v[32:33], -v[40:41]
	v_mad_u32_u24 v40, v60, s2, v252
	s_movk_i32 s2, 0x8c
	v_add_f64 v[0:1], v[22:23], v[20:21]
	v_add_f64 v[4:5], v[50:51], v[36:37]
	;; [unrolled: 1-line block ×4, first 2 shown]
	v_add_f64 v[16:17], v[22:23], -v[20:21]
	v_add_f64 v[18:19], v[14:15], -v[10:11]
	v_add_f64 v[20:21], v[30:31], v[64:65]
	v_add_f64 v[6:7], v[52:53], v[54:55]
	;; [unrolled: 1-line block ×5, first 2 shown]
	v_add_f64 v[24:25], v[50:51], -v[36:37]
	v_add_f64 v[28:29], v[48:49], -v[38:39]
	;; [unrolled: 1-line block ×7, first 2 shown]
	v_cmp_gt_u32_e32 vcc, s2, v60
	s_barrier
	ds_write_b128 v40, v[0:3]
	ds_write_b128 v40, v[4:7] offset:16
	ds_write_b128 v40, v[8:11] offset:32
	;; [unrolled: 1-line block ×9, first 2 shown]
	s_waitcnt lgkmcnt(0)
	s_barrier
	s_waitcnt lgkmcnt(0)
                                        ; implicit-def: $vgpr42_vgpr43
                                        ; implicit-def: $vgpr50_vgpr51
                                        ; implicit-def: $vgpr46_vgpr47
	s_and_saveexec_b64 s[2:3], vcc
	s_cbranch_execz .LBB0_21
; %bb.20:
	ds_read_b128 v[0:3], v252
	ds_read_b128 v[4:7], v252 offset:2240
	ds_read_b128 v[8:11], v252 offset:4480
	;; [unrolled: 1-line block ×12, first 2 shown]
.LBB0_21:
	s_or_b64 exec, exec, s[2:3]
	s_movk_i32 s2, 0xcd
	v_mul_lo_u16_sdwa v52, v60, s2 dst_sel:DWORD dst_unused:UNUSED_PAD src0_sel:BYTE_0 src1_sel:DWORD
	v_lshrrev_b16_e32 v253, 11, v52
	v_mul_lo_u16_e32 v52, 10, v253
	v_sub_u16_e32 v53, v60, v52
	v_mov_b32_e32 v52, 12
	v_mul_u32_u24_sdwa v52, v53, v52 dst_sel:DWORD dst_unused:UNUSED_PAD src0_sel:BYTE_0 src1_sel:DWORD
	v_lshlrev_b32_e32 v62, 4, v52
	v_accvgpr_write_b32 a2, v53
	global_load_dwordx4 v[52:55], v62, s[8:9]
	global_load_dwordx4 v[86:89], v62, s[8:9] offset:16
	global_load_dwordx4 v[90:93], v62, s[8:9] offset:32
	;; [unrolled: 1-line block ×11, first 2 shown]
	s_mov_b32 s2, 0xe00740e9
	s_mov_b32 s15, 0xbfddbe06
	;; [unrolled: 1-line block ×30, first 2 shown]
	s_waitcnt lgkmcnt(0)
	s_barrier
	s_waitcnt vmcnt(11)
	v_mul_f64 v[84:85], v[6:7], v[54:55]
	v_mul_f64 v[54:55], v[4:5], v[54:55]
	s_waitcnt vmcnt(10)
	v_mul_f64 v[130:131], v[10:11], v[88:89]
	v_mul_f64 v[64:65], v[8:9], v[88:89]
	;; [unrolled: 3-line block ×5, first 2 shown]
	s_waitcnt vmcnt(6)
	v_mul_f64 v[100:101], v[26:27], v[104:105]
	s_waitcnt vmcnt(0)
	v_mul_f64 v[88:89], v[40:41], v[128:129]
	v_mul_f64 v[72:73], v[24:25], v[104:105]
	;; [unrolled: 1-line block ×13, first 2 shown]
	v_fmac_f64_e32 v[54:55], v[6:7], v[52:53]
	v_fmac_f64_e32 v[88:89], v[42:43], v[126:127]
	v_fma_f64 v[84:85], v[4:5], v[52:53], -v[84:85]
	v_fma_f64 v[52:53], v[8:9], v[86:87], -v[130:131]
	v_fmac_f64_e32 v[64:65], v[10:11], v[86:87]
	v_fma_f64 v[86:87], v[12:13], v[90:91], -v[132:133]
	v_fmac_f64_e32 v[82:83], v[50:51], v[122:123]
	v_fma_f64 v[40:41], v[40:41], v[126:127], -v[124:125]
	v_add_f64 v[12:13], v[54:55], -v[88:89]
	v_fmac_f64_e32 v[66:67], v[14:15], v[90:91]
	v_fma_f64 v[90:91], v[20:21], v[94:95], -v[92:93]
	v_fmac_f64_e32 v[68:69], v[22:23], v[94:95]
	v_fma_f64 v[92:93], v[16:17], v[98:99], -v[96:97]
	v_fma_f64 v[94:95], v[24:25], v[102:103], -v[100:101]
	;; [unrolled: 1-line block ×3, first 2 shown]
	v_fmac_f64_e32 v[78:79], v[38:39], v[114:115]
	v_fma_f64 v[38:39], v[48:49], v[122:123], -v[120:121]
	v_add_f64 v[100:101], v[84:85], v[40:41]
	v_add_f64 v[14:15], v[64:65], -v[82:83]
	v_add_f64 v[28:29], v[84:85], -v[40:41]
	v_mul_f64 v[42:43], v[12:13], s[14:15]
	v_fmac_f64_e32 v[74:75], v[30:31], v[106:107]
	v_fmac_f64_e32 v[76:77], v[34:35], v[110:111]
	v_fma_f64 v[34:35], v[36:37], v[114:115], -v[112:113]
	v_fma_f64 v[36:37], v[44:45], v[118:119], -v[116:117]
	v_fmac_f64_e32 v[80:81], v[46:47], v[118:119]
	v_add_f64 v[106:107], v[52:53], v[38:39]
	v_add_f64 v[114:115], v[54:55], v[88:89]
	v_add_f64 v[30:31], v[52:53], -v[38:39]
	v_mul_f64 v[44:45], v[14:15], s[20:21]
	v_mul_f64 v[46:47], v[28:29], s[14:15]
	v_fma_f64 v[4:5], s[2:3], v[100:101], v[42:43]
	v_fma_f64 v[32:33], v[32:33], v[110:111], -v[108:109]
	v_add_f64 v[110:111], v[64:65], v[82:83]
	v_mul_f64 v[48:49], v[30:31], s[20:21]
	v_fma_f64 v[6:7], s[4:5], v[106:107], v[44:45]
	v_fma_f64 v[8:9], v[114:115], s[2:3], -v[46:47]
	v_add_f64 v[4:5], v[0:1], v[4:5]
	v_add_f64 v[200:201], v[66:67], -v[80:81]
	v_add_f64 v[8:9], v[2:3], v[8:9]
	v_add_f64 v[4:5], v[6:7], v[4:5]
	v_fma_f64 v[6:7], v[110:111], s[4:5], -v[48:49]
	v_add_f64 v[116:117], v[86:87], v[36:37]
	v_mul_f64 v[50:51], v[200:201], s[26:27]
	v_add_f64 v[204:205], v[86:87], -v[36:37]
	v_fmac_f64_e32 v[70:71], v[18:19], v[98:99]
	v_add_f64 v[6:7], v[6:7], v[8:9]
	v_fma_f64 v[8:9], s[12:13], v[116:117], v[50:51]
	v_add_f64 v[120:121], v[66:67], v[80:81]
	v_mul_f64 v[98:99], v[204:205], s[26:27]
	v_add_f64 v[212:213], v[68:69], -v[78:79]
	v_fmac_f64_e32 v[72:73], v[26:27], v[102:103]
	v_add_f64 v[4:5], v[8:9], v[4:5]
	v_fma_f64 v[8:9], v[120:121], s[12:13], -v[98:99]
	v_add_f64 v[122:123], v[90:91], v[34:35]
	v_mul_f64 v[102:103], v[212:213], s[24:25]
	v_add_f64 v[214:215], v[90:91], -v[34:35]
	v_add_f64 v[6:7], v[8:9], v[6:7]
	v_fma_f64 v[8:9], s[18:19], v[122:123], v[102:103]
	v_add_f64 v[126:127], v[68:69], v[78:79]
	v_mul_f64 v[104:105], v[214:215], s[24:25]
	v_add_f64 v[248:249], v[70:71], -v[76:77]
	v_add_f64 v[4:5], v[8:9], v[4:5]
	v_fma_f64 v[8:9], v[126:127], s[18:19], -v[104:105]
	v_add_f64 v[132:133], v[92:93], v[32:33]
	v_mul_f64 v[108:109], v[248:249], s[28:29]
	v_add_f64 v[250:251], v[92:93], -v[32:33]
	v_add_f64 v[6:7], v[8:9], v[6:7]
	v_fma_f64 v[8:9], s[16:17], v[132:133], v[108:109]
	v_add_f64 v[138:139], v[70:71], v[76:77]
	v_mul_f64 v[112:113], v[250:251], s[28:29]
	v_add_f64 v[62:63], v[72:73], -v[74:75]
	v_add_f64 v[4:5], v[8:9], v[4:5]
	v_fma_f64 v[8:9], v[138:139], s[16:17], -v[112:113]
	v_add_f64 v[152:153], v[94:95], v[96:97]
	v_mul_f64 v[118:119], v[62:63], s[30:31]
	v_add_f64 v[254:255], v[94:95], -v[96:97]
	v_add_f64 v[6:7], v[8:9], v[6:7]
	v_fma_f64 v[8:9], s[22:23], v[152:153], v[118:119]
	v_add_f64 v[156:157], v[72:73], v[74:75]
	v_mul_f64 v[124:125], v[254:255], s[30:31]
	v_add_f64 v[4:5], v[8:9], v[4:5]
	v_fma_f64 v[8:9], v[156:157], s[22:23], -v[124:125]
	v_mul_f64 v[128:129], v[12:13], s[20:21]
	v_add_f64 v[6:7], v[8:9], v[6:7]
	v_fma_f64 v[8:9], s[4:5], v[100:101], v[128:129]
	v_mul_f64 v[130:131], v[14:15], s[24:25]
	v_add_f64 v[8:9], v[0:1], v[8:9]
	v_fma_f64 v[10:11], s[18:19], v[106:107], v[130:131]
	v_mul_f64 v[136:137], v[28:29], s[20:21]
	v_add_f64 v[8:9], v[10:11], v[8:9]
	v_fma_f64 v[10:11], v[114:115], s[4:5], -v[136:137]
	v_mul_f64 v[142:143], v[30:31], s[24:25]
	v_add_f64 v[10:11], v[2:3], v[10:11]
	v_fma_f64 v[16:17], v[110:111], s[18:19], -v[142:143]
	v_mul_f64 v[134:135], v[200:201], s[30:31]
	v_add_f64 v[10:11], v[16:17], v[10:11]
	v_fma_f64 v[16:17], s[22:23], v[116:117], v[134:135]
	v_mul_f64 v[144:145], v[204:205], s[30:31]
	v_add_f64 v[8:9], v[16:17], v[8:9]
	v_fma_f64 v[16:17], v[120:121], s[22:23], -v[144:145]
	v_mul_f64 v[140:141], v[212:213], s[36:37]
	v_add_f64 v[10:11], v[16:17], v[10:11]
	v_fma_f64 v[16:17], s[16:17], v[122:123], v[140:141]
	;; [unrolled: 6-line block ×3, first 2 shown]
	v_mul_f64 v[154:155], v[250:251], s[34:35]
	s_mov_b32 s15, 0x3fddbe06
	v_add_f64 v[8:9], v[16:17], v[8:9]
	v_fma_f64 v[16:17], v[138:139], s[12:13], -v[154:155]
	v_mul_f64 v[150:151], v[62:63], s[14:15]
	v_add_f64 v[10:11], v[16:17], v[10:11]
	v_fma_f64 v[16:17], s[2:3], v[152:153], v[150:151]
	v_mul_f64 v[158:159], v[254:255], s[14:15]
	v_add_f64 v[8:9], v[16:17], v[8:9]
	v_fma_f64 v[16:17], v[156:157], s[2:3], -v[158:159]
	v_mul_f64 v[160:161], v[12:13], s[26:27]
	v_add_f64 v[10:11], v[16:17], v[10:11]
	v_fma_f64 v[16:17], s[12:13], v[100:101], v[160:161]
	v_mul_f64 v[162:163], v[14:15], s[30:31]
	v_add_f64 v[16:17], v[0:1], v[16:17]
	v_fma_f64 v[18:19], s[22:23], v[106:107], v[162:163]
	v_mul_f64 v[166:167], v[28:29], s[26:27]
	v_add_f64 v[16:17], v[18:19], v[16:17]
	v_fma_f64 v[18:19], v[114:115], s[12:13], -v[166:167]
	v_mul_f64 v[170:171], v[30:31], s[30:31]
	v_add_f64 v[18:19], v[2:3], v[18:19]
	v_fma_f64 v[20:21], v[110:111], s[22:23], -v[170:171]
	v_mul_f64 v[164:165], v[200:201], s[38:39]
	v_add_f64 v[18:19], v[20:21], v[18:19]
	v_fma_f64 v[20:21], s[18:19], v[116:117], v[164:165]
	v_mul_f64 v[174:175], v[204:205], s[38:39]
	v_add_f64 v[16:17], v[20:21], v[16:17]
	v_fma_f64 v[20:21], v[120:121], s[18:19], -v[174:175]
	v_mul_f64 v[168:169], v[212:213], s[14:15]
	v_add_f64 v[18:19], v[20:21], v[18:19]
	v_fma_f64 v[20:21], s[2:3], v[122:123], v[168:169]
	;; [unrolled: 6-line block ×5, first 2 shown]
	v_mul_f64 v[186:187], v[14:15], s[36:37]
	v_add_f64 v[20:21], v[0:1], v[20:21]
	v_fma_f64 v[22:23], s[16:17], v[106:107], v[186:187]
	v_mul_f64 v[194:195], v[28:29], s[24:25]
	v_add_f64 v[20:21], v[22:23], v[20:21]
	v_fma_f64 v[22:23], v[114:115], s[18:19], -v[194:195]
	v_mul_f64 v[196:197], v[30:31], s[36:37]
	v_add_f64 v[22:23], v[2:3], v[22:23]
	v_fma_f64 v[24:25], v[110:111], s[16:17], -v[196:197]
	v_mul_f64 v[188:189], v[200:201], s[14:15]
	v_add_f64 v[22:23], v[24:25], v[22:23]
	v_fma_f64 v[24:25], s[2:3], v[116:117], v[188:189]
	v_mul_f64 v[202:203], v[204:205], s[14:15]
	v_add_f64 v[20:21], v[24:25], v[20:21]
	v_fma_f64 v[24:25], v[120:121], s[2:3], -v[202:203]
	v_mul_f64 v[190:191], v[212:213], s[26:27]
	v_add_f64 v[22:23], v[24:25], v[22:23]
	v_fma_f64 v[24:25], s[12:13], v[122:123], v[190:191]
	v_mul_f64 v[206:207], v[214:215], s[26:27]
	s_mov_b32 s27, 0x3fcea1e5
	s_mov_b32 s26, s30
	v_add_f64 v[20:21], v[24:25], v[20:21]
	v_fma_f64 v[24:25], v[126:127], s[12:13], -v[206:207]
	v_mul_f64 v[192:193], v[248:249], s[26:27]
	v_add_f64 v[22:23], v[24:25], v[22:23]
	v_fma_f64 v[24:25], s[22:23], v[132:133], v[192:193]
	v_mul_f64 v[208:209], v[250:251], s[26:27]
	s_mov_b32 s37, 0x3fea55e2
	s_mov_b32 s36, s20
	v_add_f64 v[20:21], v[24:25], v[20:21]
	v_fma_f64 v[24:25], v[138:139], s[22:23], -v[208:209]
	v_mul_f64 v[198:199], v[62:63], s[36:37]
	v_add_f64 v[22:23], v[24:25], v[22:23]
	v_fma_f64 v[24:25], s[4:5], v[152:153], v[198:199]
	v_mul_f64 v[210:211], v[254:255], s[36:37]
	v_add_f64 v[20:21], v[24:25], v[20:21]
	v_fma_f64 v[24:25], v[156:157], s[4:5], -v[210:211]
	v_mul_f64 v[216:217], v[12:13], s[28:29]
	v_add_f64 v[22:23], v[24:25], v[22:23]
	v_fma_f64 v[24:25], s[16:17], v[100:101], v[216:217]
	v_mul_f64 v[218:219], v[14:15], s[34:35]
	v_add_f64 v[24:25], v[0:1], v[24:25]
	v_fma_f64 v[26:27], s[12:13], v[106:107], v[218:219]
	v_mul_f64 v[226:227], v[28:29], s[28:29]
	v_add_f64 v[24:25], v[26:27], v[24:25]
	v_fma_f64 v[26:27], v[114:115], s[16:17], -v[226:227]
	v_mul_f64 v[230:231], v[30:31], s[34:35]
	v_add_f64 v[26:27], v[2:3], v[26:27]
	v_fma_f64 v[220:221], v[110:111], s[12:13], -v[230:231]
	v_add_f64 v[26:27], v[220:221], v[26:27]
	v_mul_f64 v[220:221], v[200:201], s[20:21]
	v_fma_f64 v[222:223], s[4:5], v[116:117], v[220:221]
	v_mul_f64 v[232:233], v[204:205], s[20:21]
	v_add_f64 v[24:25], v[222:223], v[24:25]
	v_fma_f64 v[222:223], v[120:121], s[4:5], -v[232:233]
	v_add_f64 v[26:27], v[222:223], v[26:27]
	v_mul_f64 v[222:223], v[212:213], s[26:27]
	v_fma_f64 v[224:225], s[22:23], v[122:123], v[222:223]
	;; [unrolled: 6-line block ×4, first 2 shown]
	v_add_f64 v[24:25], v[238:239], v[24:25]
	v_mul_f64 v[238:239], v[254:255], s[24:25]
	v_fma_f64 v[240:241], v[156:157], s[18:19], -v[238:239]
	v_add_f64 v[26:27], v[240:241], v[26:27]
	v_mul_f64 v[240:241], v[12:13], s[30:31]
	v_fma_f64 v[12:13], s[22:23], v[100:101], v[240:241]
	v_mul_f64 v[242:243], v[14:15], s[14:15]
	v_add_f64 v[12:13], v[0:1], v[12:13]
	v_fma_f64 v[14:15], s[2:3], v[106:107], v[242:243]
	v_mul_f64 v[244:245], v[28:29], s[30:31]
	v_add_f64 v[12:13], v[14:15], v[12:13]
	v_fma_f64 v[14:15], v[114:115], s[22:23], -v[244:245]
	v_mul_f64 v[246:247], v[30:31], s[14:15]
	v_add_f64 v[14:15], v[2:3], v[14:15]
	v_fma_f64 v[28:29], v[110:111], s[2:3], -v[246:247]
	v_add_f64 v[14:15], v[28:29], v[14:15]
	v_mul_f64 v[28:29], v[200:201], s[28:29]
	v_fma_f64 v[30:31], s[16:17], v[116:117], v[28:29]
	v_mul_f64 v[200:201], v[204:205], s[28:29]
	v_add_f64 v[12:13], v[30:31], v[12:13]
	v_fma_f64 v[30:31], v[120:121], s[16:17], -v[200:201]
	v_add_f64 v[14:15], v[30:31], v[14:15]
	v_mul_f64 v[30:31], v[212:213], s[36:37]
	v_fma_f64 v[204:205], s[4:5], v[122:123], v[30:31]
	;; [unrolled: 6-line block ×3, first 2 shown]
	v_mul_f64 v[248:249], v[250:251], s[24:25]
	v_add_f64 v[12:13], v[212:213], v[12:13]
	v_fma_f64 v[212:213], v[138:139], s[18:19], -v[248:249]
	v_add_f64 v[14:15], v[212:213], v[14:15]
	v_mul_f64 v[212:213], v[62:63], s[34:35]
	v_mul_f64 v[250:251], v[254:255], s[34:35]
	v_fma_f64 v[62:63], s[12:13], v[152:153], v[212:213]
	v_add_f64 v[12:13], v[62:63], v[12:13]
	v_fma_f64 v[62:63], v[156:157], s[12:13], -v[250:251]
	v_add_f64 v[14:15], v[62:63], v[14:15]
	s_and_saveexec_b64 s[14:15], vcc
	s_cbranch_execz .LBB0_23
; %bb.22:
	v_mul_f64 v[62:63], v[156:157], s[12:13]
	v_add_f64 v[62:63], v[250:251], v[62:63]
	v_mul_f64 v[250:251], v[138:139], s[18:19]
	v_add_f64 v[248:249], v[248:249], v[250:251]
	;; [unrolled: 2-line block ×6, first 2 shown]
	v_add_f64 v[244:245], v[2:3], v[244:245]
	v_add_f64 v[244:245], v[246:247], v[244:245]
	v_mul_f64 v[246:247], v[152:153], s[12:13]
	v_add_f64 v[212:213], v[246:247], -v[212:213]
	v_mul_f64 v[246:247], v[132:133], s[18:19]
	v_add_f64 v[204:205], v[246:247], -v[204:205]
	;; [unrolled: 2-line block ×6, first 2 shown]
	v_add_f64 v[244:245], v[200:201], v[244:245]
	v_add_f64 v[240:241], v[0:1], v[240:241]
	;; [unrolled: 1-line block ×8, first 2 shown]
	v_mul_f64 v[214:215], v[138:139], s[2:3]
	v_add_f64 v[214:215], v[236:237], v[214:215]
	v_mul_f64 v[236:237], v[126:127], s[22:23]
	v_mul_f64 v[244:245], v[114:115], s[2:3]
	;; [unrolled: 1-line block ×6, first 2 shown]
	v_add_f64 v[234:235], v[234:235], v[236:237]
	v_mul_f64 v[236:237], v[120:121], s[4:5]
	v_add_f64 v[232:233], v[232:233], v[236:237]
	v_mul_f64 v[236:237], v[110:111], s[12:13]
	v_add_f64 v[114:115], v[226:227], v[114:115]
	v_add_f64 v[230:231], v[230:231], v[236:237]
	v_add_f64 v[114:115], v[2:3], v[114:115]
	v_add_f64 v[114:115], v[230:231], v[114:115]
	v_add_f64 v[114:115], v[232:233], v[114:115]
	v_add_f64 v[114:115], v[234:235], v[114:115]
	v_add_f64 v[114:115], v[214:215], v[114:115]
	v_mul_f64 v[214:215], v[152:153], s[18:19]
	v_add_f64 v[228:229], v[214:215], -v[228:229]
	v_mul_f64 v[214:215], v[132:133], s[2:3]
	v_add_f64 v[214:215], v[214:215], -v[224:225]
	v_mul_f64 v[224:225], v[122:123], s[22:23]
	v_mul_f64 v[200:201], v[100:101], s[2:3]
	;; [unrolled: 1-line block ×4, first 2 shown]
	v_add_f64 v[28:29], v[204:205], v[28:29]
	v_mul_f64 v[204:205], v[100:101], s[18:19]
	v_mul_f64 v[100:101], v[100:101], s[16:17]
	v_add_f64 v[222:223], v[224:225], -v[222:223]
	v_mul_f64 v[224:225], v[116:117], s[4:5]
	v_add_f64 v[220:221], v[224:225], -v[220:221]
	;; [unrolled: 2-line block ×3, first 2 shown]
	v_add_f64 v[218:219], v[224:225], -v[218:219]
	v_add_f64 v[100:101], v[0:1], v[100:101]
	v_add_f64 v[100:101], v[218:219], v[100:101]
	;; [unrolled: 1-line block ×3, first 2 shown]
	v_mul_f64 v[212:213], v[156:157], s[18:19]
	v_add_f64 v[100:101], v[220:221], v[100:101]
	v_add_f64 v[212:213], v[238:239], v[212:213]
	v_mul_f64 v[226:227], v[110:111], s[4:5]
	v_mul_f64 v[232:233], v[110:111], s[18:19]
	v_mul_f64 v[224:225], v[110:111], s[22:23]
	v_mul_f64 v[110:111], v[110:111], s[16:17]
	v_add_f64 v[100:101], v[222:223], v[100:101]
	v_add_f64 v[62:63], v[194:195], v[62:63]
	v_mul_f64 v[216:217], v[116:117], s[12:13]
	v_mul_f64 v[220:221], v[116:117], s[22:23]
	v_add_f64 v[100:101], v[214:215], v[100:101]
	v_mul_f64 v[238:239], v[116:117], s[18:19]
	v_add_f64 v[214:215], v[212:213], v[114:115]
	v_mul_f64 v[114:115], v[116:117], s[2:3]
	v_mul_f64 v[116:117], v[120:121], s[2:3]
	v_add_f64 v[110:111], v[196:197], v[110:111]
	v_add_f64 v[62:63], v[2:3], v[62:63]
	v_mul_f64 v[218:219], v[120:121], s[12:13]
	v_mul_f64 v[222:223], v[120:121], s[22:23]
	v_add_f64 v[212:213], v[228:229], v[100:101]
	v_mul_f64 v[100:101], v[120:121], s[18:19]
	v_mul_f64 v[120:121], v[156:157], s[4:5]
	v_add_f64 v[116:117], v[202:203], v[116:117]
	v_add_f64 v[62:63], v[110:111], v[62:63]
	;; [unrolled: 1-line block ×3, first 2 shown]
	v_mul_f64 v[210:211], v[138:139], s[22:23]
	v_add_f64 v[62:63], v[116:117], v[62:63]
	v_mul_f64 v[116:117], v[152:153], s[4:5]
	v_add_f64 v[208:209], v[208:209], v[210:211]
	v_mul_f64 v[210:211], v[126:127], s[12:13]
	v_add_f64 v[198:199], v[116:117], -v[198:199]
	v_mul_f64 v[116:117], v[132:133], s[22:23]
	v_mul_f64 v[236:237], v[106:107], s[4:5]
	;; [unrolled: 1-line block ×5, first 2 shown]
	v_add_f64 v[206:207], v[206:207], v[210:211]
	v_add_f64 v[192:193], v[116:117], -v[192:193]
	v_add_f64 v[116:117], v[204:205], -v[184:185]
	v_add_f64 v[62:63], v[206:207], v[62:63]
	v_add_f64 v[106:107], v[106:107], -v[186:187]
	v_add_f64 v[116:117], v[0:1], v[116:117]
	v_mul_f64 v[210:211], v[122:123], s[18:19]
	v_mul_f64 v[202:203], v[126:127], s[18:19]
	;; [unrolled: 1-line block ×7, first 2 shown]
	v_add_f64 v[62:63], v[208:209], v[62:63]
	v_add_f64 v[114:115], v[114:115], -v[188:189]
	v_add_f64 v[106:107], v[106:107], v[116:117]
	v_add_f64 v[122:123], v[122:123], -v[190:191]
	v_add_f64 v[116:117], v[120:121], v[62:63]
	v_add_f64 v[62:63], v[114:115], v[106:107]
	;; [unrolled: 1-line block ×9, first 2 shown]
	v_mul_f64 v[206:207], v[138:139], s[16:17]
	v_mul_f64 v[190:191], v[138:139], s[12:13]
	v_mul_f64 v[138:139], v[138:139], s[4:5]
	v_add_f64 v[100:101], v[100:101], v[122:123]
	v_mul_f64 v[186:187], v[156:157], s[22:23]
	v_mul_f64 v[204:205], v[156:157], s[2:3]
	;; [unrolled: 1-line block ×3, first 2 shown]
	v_add_f64 v[62:63], v[192:193], v[62:63]
	v_add_f64 v[106:107], v[180:181], v[138:139]
	;; [unrolled: 1-line block ×3, first 2 shown]
	v_mul_f64 v[228:229], v[132:133], s[16:17]
	v_mul_f64 v[208:209], v[132:133], s[12:13]
	;; [unrolled: 1-line block ×3, first 2 shown]
	v_add_f64 v[114:115], v[198:199], v[62:63]
	v_add_f64 v[62:63], v[182:183], v[156:157]
	v_add_f64 v[100:101], v[106:107], v[100:101]
	v_add_f64 v[126:127], v[240:241], -v[160:161]
	v_add_f64 v[122:123], v[62:63], v[100:101]
	v_add_f64 v[100:101], v[132:133], -v[172:173]
	v_add_f64 v[120:121], v[234:235], -v[162:163]
	v_add_f64 v[126:127], v[0:1], v[126:127]
	v_add_f64 v[132:133], v[136:137], v[242:243]
	v_add_f64 v[128:129], v[246:247], -v[128:129]
	v_add_f64 v[46:47], v[46:47], v[244:245]
	v_add_f64 v[42:43], v[200:201], -v[42:43]
	v_add_f64 v[106:107], v[110:111], -v[168:169]
	;; [unrolled: 1-line block ×3, first 2 shown]
	v_add_f64 v[120:121], v[120:121], v[126:127]
	v_add_f64 v[132:133], v[2:3], v[132:133]
	;; [unrolled: 1-line block ×11, first 2 shown]
	v_mul_f64 v[188:189], v[152:153], s[22:23]
	v_mul_f64 v[184:185], v[152:153], s[2:3]
	;; [unrolled: 1-line block ×3, first 2 shown]
	v_add_f64 v[106:107], v[106:107], v[110:111]
	v_add_f64 v[110:111], v[144:145], v[222:223]
	;; [unrolled: 1-line block ×5, first 2 shown]
	v_add_f64 v[62:63], v[152:153], -v[176:177]
	v_add_f64 v[100:101], v[100:101], v[106:107]
	v_add_f64 v[106:107], v[148:149], v[194:195]
	v_add_f64 v[110:111], v[110:111], v[126:127]
	v_add_f64 v[126:127], v[230:231], -v[130:131]
	v_add_f64 v[2:3], v[2:3], v[68:69]
	v_add_f64 v[0:1], v[0:1], v[90:91]
	v_add_f64 v[120:121], v[62:63], v[100:101]
	v_add_f64 v[100:101], v[154:155], v[190:191]
	v_add_f64 v[106:107], v[106:107], v[110:111]
	v_add_f64 v[110:111], v[220:221], -v[134:135]
	v_add_f64 v[126:127], v[126:127], v[128:129]
	v_add_f64 v[2:3], v[2:3], v[70:71]
	;; [unrolled: 6-line block ×5, first 2 shown]
	v_add_f64 v[46:47], v[98:99], v[46:47]
	v_add_f64 v[44:45], v[236:237], -v[44:45]
	v_add_f64 v[2:3], v[2:3], v[76:77]
	v_add_f64 v[0:1], v[0:1], v[32:33]
	;; [unrolled: 1-line block ×5, first 2 shown]
	v_add_f64 v[50:51], v[216:217], -v[50:51]
	v_add_f64 v[42:43], v[44:45], v[42:43]
	v_add_f64 v[2:3], v[2:3], v[78:79]
	;; [unrolled: 1-line block ×5, first 2 shown]
	v_add_f64 v[98:99], v[210:211], -v[102:103]
	v_add_f64 v[42:43], v[50:51], v[42:43]
	v_add_f64 v[2:3], v[2:3], v[80:81]
	;; [unrolled: 1-line block ×3, first 2 shown]
	v_mov_b32_e32 v33, 4
	v_accvgpr_read_b32 v34, a2
	v_add_f64 v[46:47], v[62:63], v[46:47]
	v_add_f64 v[62:63], v[228:229], -v[108:109]
	v_add_f64 v[42:43], v[98:99], v[42:43]
	v_add_f64 v[2:3], v[2:3], v[82:83]
	v_add_f64 v[0:1], v[0:1], v[38:39]
	v_mul_u32_u24_e32 v32, 0x820, v253
	v_lshlrev_b32_sdwa v33, v33, v34 dst_sel:DWORD dst_unused:UNUSED_PAD src0_sel:DWORD src1_sel:BYTE_0
	v_add_f64 v[48:49], v[188:189], -v[118:119]
	v_add_f64 v[42:43], v[62:63], v[42:43]
	v_add_f64 v[2:3], v[2:3], v[88:89]
	;; [unrolled: 1-line block ×3, first 2 shown]
	v_add3_u32 v32, 0, v32, v33
	v_add_f64 v[44:45], v[48:49], v[42:43]
	ds_write_b128 v32, v[0:3]
	ds_write_b128 v32, v[44:47] offset:160
	ds_write_b128 v32, v[130:133] offset:320
	;; [unrolled: 1-line block ×12, first 2 shown]
.LBB0_23:
	s_or_b64 exec, exec, s[14:15]
	s_waitcnt lgkmcnt(0)
	s_barrier
	ds_read_b128 v[28:31], v252
	ds_read_b128 v[52:55], v252 offset:4160
	ds_read_b128 v[48:51], v252 offset:8320
	;; [unrolled: 1-line block ×6, first 2 shown]
	s_movk_i32 s2, 0x4e
	v_cmp_gt_u32_e32 vcc, s2, v60
                                        ; implicit-def: $vgpr2_vgpr3
	s_and_saveexec_b64 s[2:3], vcc
	s_cbranch_execz .LBB0_25
; %bb.24:
	ds_read_b128 v[12:15], v252 offset:2912
	ds_read_b128 v[24:27], v252 offset:7072
	;; [unrolled: 1-line block ×7, first 2 shown]
.LBB0_25:
	s_or_b64 exec, exec, s[2:3]
	s_movk_i32 s2, 0x82
	v_add_u32_e32 v62, 0xffffff7e, v60
	v_cmp_gt_u32_e64 s[2:3], s2, v60
	v_mov_b32_e32 v63, 0
	s_mov_b32 s12, 0x37e14327
	v_cndmask_b32_e64 v98, v62, v60, s[2:3]
	v_mul_i32_i24_e32 v62, 6, v98
	v_lshl_add_u64 v[62:63], v[62:63], 4, s[8:9]
	global_load_dwordx4 v[64:67], v[62:63], off offset:1920
	global_load_dwordx4 v[68:71], v[62:63], off offset:1936
	;; [unrolled: 1-line block ×6, first 2 shown]
	s_mov_b32 s14, 0x36b3c0b5
	s_mov_b32 s18, 0xe976ee23
	;; [unrolled: 1-line block ×19, first 2 shown]
	s_movk_i32 s2, 0x81
	v_cmp_lt_u32_e64 s[2:3], s2, v60
	s_waitcnt lgkmcnt(0)
	s_barrier
	s_waitcnt vmcnt(5)
	v_mul_f64 v[62:63], v[54:55], v[66:67]
	v_mul_f64 v[66:67], v[52:53], v[66:67]
	s_waitcnt vmcnt(4)
	v_mul_f64 v[88:89], v[50:51], v[70:71]
	v_mul_f64 v[70:71], v[48:49], v[70:71]
	;; [unrolled: 3-line block ×4, first 2 shown]
	v_mul_f64 v[90:91], v[46:47], v[74:75]
	v_mul_f64 v[74:75], v[44:45], v[74:75]
	v_mul_f64 v[92:93], v[42:43], v[78:79]
	v_mul_f64 v[78:79], v[40:41], v[78:79]
	v_fma_f64 v[52:53], v[52:53], v[64:65], -v[62:63]
	v_fmac_f64_e32 v[66:67], v[54:55], v[64:65]
	v_fma_f64 v[48:49], v[48:49], v[68:69], -v[88:89]
	v_fmac_f64_e32 v[70:71], v[50:51], v[68:69]
	;; [unrolled: 2-line block ×6, first 2 shown]
	v_add_f64 v[34:35], v[52:53], v[32:33]
	v_add_f64 v[38:39], v[66:67], v[86:87]
	;; [unrolled: 1-line block ×4, first 2 shown]
	v_add_f64 v[32:33], v[52:53], -v[32:33]
	v_add_f64 v[52:53], v[44:45], v[40:41]
	v_add_f64 v[54:55], v[74:75], v[78:79]
	;; [unrolled: 1-line block ×4, first 2 shown]
	v_add_f64 v[42:43], v[66:67], -v[86:87]
	v_add_f64 v[36:37], v[48:49], -v[36:37]
	;; [unrolled: 1-line block ×9, first 2 shown]
	v_add_f64 v[52:53], v[52:53], v[62:63]
	v_add_f64 v[54:55], v[54:55], v[64:65]
	v_add_f64 v[48:49], v[70:71], -v[82:83]
	v_add_f64 v[44:45], v[78:79], -v[74:75]
	v_add_f64 v[70:71], v[40:41], v[36:37]
	v_add_f64 v[74:75], v[40:41], -v[36:37]
	v_add_f64 v[36:37], v[36:37], -v[32:33]
	v_add_f64 v[28:29], v[28:29], v[52:53]
	v_add_f64 v[30:31], v[30:31], v[54:55]
	;; [unrolled: 1-line block ×3, first 2 shown]
	v_add_f64 v[76:77], v[44:45], -v[48:49]
	v_add_f64 v[40:41], v[32:33], -v[40:41]
	;; [unrolled: 1-line block ×3, first 2 shown]
	v_add_f64 v[32:33], v[70:71], v[32:33]
	v_mul_f64 v[34:35], v[34:35], s[12:13]
	v_mul_f64 v[38:39], v[38:39], s[12:13]
	;; [unrolled: 1-line block ×6, first 2 shown]
	v_mov_b64_e32 v[78:79], v[28:29]
	v_mov_b64_e32 v[80:81], v[30:31]
	v_add_f64 v[44:45], v[42:43], -v[44:45]
	v_add_f64 v[42:43], v[72:73], v[42:43]
	v_mul_f64 v[72:73], v[76:77], s[18:19]
	v_mul_f64 v[76:77], v[48:49], s[4:5]
	v_fmac_f64_e32 v[78:79], s[16:17], v[52:53]
	v_fmac_f64_e32 v[80:81], s[16:17], v[54:55]
	v_fma_f64 v[52:53], v[66:67], s[20:21], -v[62:63]
	v_fma_f64 v[54:55], v[68:69], s[20:21], -v[64:65]
	;; [unrolled: 1-line block ×3, first 2 shown]
	v_fmac_f64_e32 v[34:35], s[14:15], v[46:47]
	v_fma_f64 v[46:47], v[68:69], s[22:23], -v[38:39]
	v_fmac_f64_e32 v[38:39], s[14:15], v[50:51]
	v_fma_f64 v[50:51], v[36:37], s[4:5], -v[70:71]
	v_fma_f64 v[64:65], v[40:41], s[26:27], -v[74:75]
	;; [unrolled: 1-line block ×3, first 2 shown]
	v_fmac_f64_e32 v[72:73], s[28:29], v[44:45]
	v_fma_f64 v[66:67], v[44:45], s[26:27], -v[76:77]
	v_add_f64 v[44:45], v[52:53], v[78:79]
	v_add_f64 v[52:53], v[54:55], v[80:81]
	;; [unrolled: 1-line block ×4, first 2 shown]
	v_fmac_f64_e32 v[50:51], s[24:25], v[32:33]
	v_fmac_f64_e32 v[64:65], s[24:25], v[32:33]
	v_add_f64 v[74:75], v[38:39], v[80:81]
	v_fmac_f64_e32 v[72:73], s[24:25], v[42:43]
	v_fmac_f64_e32 v[48:49], s[24:25], v[42:43]
	;; [unrolled: 1-line block ×3, first 2 shown]
	v_add_f64 v[38:39], v[62:63], -v[64:65]
	v_add_f64 v[42:43], v[50:51], v[52:53]
	v_add_f64 v[46:47], v[52:53], -v[50:51]
	v_add_f64 v[50:51], v[64:65], v[62:63]
	v_mov_b32_e32 v62, 0x38e0
	v_fmac_f64_e32 v[70:71], s[28:29], v[40:41]
	v_cndmask_b32_e64 v62, 0, v62, s[2:3]
	v_lshlrev_b32_e32 v63, 4, v98
	v_add_f64 v[68:69], v[34:35], v[78:79]
	v_fmac_f64_e32 v[70:71], s[24:25], v[32:33]
	v_add3_u32 v62, 0, v62, v63
	v_add_f64 v[32:33], v[72:73], v[68:69]
	v_add_f64 v[34:35], v[74:75], -v[70:71]
	v_add_f64 v[36:37], v[66:67], v[54:55]
	v_add_f64 v[40:41], v[44:45], -v[48:49]
	;; [unrolled: 2-line block ×3, first 2 shown]
	v_add_f64 v[52:53], v[68:69], -v[72:73]
	v_add_f64 v[54:55], v[70:71], v[74:75]
	ds_write_b128 v62, v[28:31]
	ds_write_b128 v62, v[32:35] offset:2080
	ds_write_b128 v62, v[36:39] offset:4160
	;; [unrolled: 1-line block ×6, first 2 shown]
	s_and_saveexec_b64 s[2:3], vcc
	s_cbranch_execz .LBB0_27
; %bb.26:
	v_add_u32_e32 v28, 0xb6, v60
	s_movk_i32 s30, 0xfc1
	v_mul_u32_u24_sdwa v29, v28, s30 dst_sel:DWORD dst_unused:UNUSED_PAD src0_sel:WORD_0 src1_sel:DWORD
	v_lshrrev_b32_e32 v29, 19, v29
	v_mul_lo_u16_e32 v29, 0x82, v29
	v_sub_u16_e32 v70, v28, v29
	v_mul_u32_u24_e32 v28, 6, v70
	v_lshlrev_b32_e32 v52, 4, v28
	global_load_dwordx4 v[28:31], v52, s[8:9] offset:1968
	global_load_dwordx4 v[32:35], v52, s[8:9] offset:1952
	global_load_dwordx4 v[36:39], v52, s[8:9] offset:1936
	global_load_dwordx4 v[40:43], v52, s[8:9] offset:1984
	global_load_dwordx4 v[44:47], v52, s[8:9] offset:1920
	global_load_dwordx4 v[48:51], v52, s[8:9] offset:2000
	s_waitcnt vmcnt(5)
	v_mul_f64 v[52:53], v[10:11], v[30:31]
	s_waitcnt vmcnt(4)
	v_mul_f64 v[54:55], v[18:19], v[34:35]
	s_waitcnt vmcnt(3)
	v_mul_f64 v[62:63], v[22:23], v[38:39]
	s_waitcnt vmcnt(2)
	v_mul_f64 v[64:65], v[6:7], v[42:43]
	s_waitcnt vmcnt(1)
	v_mul_f64 v[66:67], v[26:27], v[46:47]
	s_waitcnt vmcnt(0)
	v_mul_f64 v[68:69], v[2:3], v[50:51]
	v_mul_f64 v[34:35], v[16:17], v[34:35]
	v_mul_f64 v[30:31], v[8:9], v[30:31]
	;; [unrolled: 1-line block ×6, first 2 shown]
	v_fma_f64 v[20:21], v[20:21], v[36:37], -v[62:63]
	v_fma_f64 v[4:5], v[4:5], v[40:41], -v[64:65]
	;; [unrolled: 1-line block ×6, first 2 shown]
	v_fmac_f64_e32 v[34:35], v[18:19], v[32:33]
	v_fmac_f64_e32 v[30:31], v[10:11], v[28:29]
	;; [unrolled: 1-line block ×6, first 2 shown]
	v_add_f64 v[6:7], v[20:21], -v[4:5]
	v_add_f64 v[10:11], v[24:25], -v[0:1]
	v_add_f64 v[4:5], v[20:21], v[4:5]
	v_add_f64 v[0:1], v[24:25], v[0:1]
	v_add_f64 v[2:3], v[8:9], -v[16:17]
	v_add_f64 v[18:19], v[34:35], v[30:31]
	v_add_f64 v[22:23], v[38:39], v[42:43]
	;; [unrolled: 1-line block ×4, first 2 shown]
	v_add_f64 v[20:21], v[38:39], -v[42:43]
	v_add_f64 v[42:43], v[4:5], v[0:1]
	v_add_f64 v[16:17], v[30:31], -v[34:35]
	v_add_f64 v[34:35], v[26:27], -v[18:19]
	v_add_f64 v[36:37], v[22:23], v[26:27]
	v_add_f64 v[38:39], v[8:9], -v[4:5]
	;; [unrolled: 3-line block ×3, first 2 shown]
	v_add_f64 v[28:29], v[2:3], v[6:7]
	v_add_f64 v[30:31], v[2:3], -v[6:7]
	v_add_f64 v[32:33], v[10:11], -v[2:3]
	;; [unrolled: 1-line block ×3, first 2 shown]
	v_add_f64 v[44:45], v[16:17], v[20:21]
	v_add_f64 v[46:47], v[16:17], -v[20:21]
	v_add_f64 v[48:49], v[6:7], -v[10:11]
	v_add_f64 v[22:23], v[22:23], -v[26:27]
	v_add_f64 v[26:27], v[4:5], -v[0:1]
	v_mul_f64 v[4:5], v[34:35], s[12:13]
	v_add_f64 v[6:7], v[18:19], v[36:37]
	v_add_f64 v[0:1], v[12:13], v[8:9]
	v_mul_f64 v[50:51], v[2:3], s[14:15]
	v_mul_f64 v[34:35], v[40:41], s[12:13]
	v_add_f64 v[36:37], v[44:45], v[24:25]
	v_mul_f64 v[40:41], v[46:47], s[18:19]
	v_fma_f64 v[44:45], s[14:15], v[2:3], v[4:5]
	v_add_f64 v[2:3], v[14:15], v[6:7]
	v_mov_b64_e32 v[46:47], v[0:1]
	v_fma_f64 v[14:15], s[14:15], v[38:39], v[34:35]
	v_mov_b64_e32 v[12:13], v[2:3]
	v_fmac_f64_e32 v[46:47], s[16:17], v[8:9]
	v_fma_f64 v[8:9], v[26:27], s[22:23], -v[34:35]
	v_add_f64 v[20:21], v[20:21], -v[24:25]
	v_add_f64 v[16:17], v[24:25], -v[16:17]
	v_add_f64 v[28:29], v[28:29], v[10:11]
	v_mul_f64 v[30:31], v[30:31], s[18:19]
	v_mul_f64 v[18:19], v[38:39], s[14:15]
	;; [unrolled: 1-line block ×3, first 2 shown]
	v_fma_f64 v[4:5], v[22:23], s[22:23], -v[4:5]
	v_fmac_f64_e32 v[12:13], s[16:17], v[6:7]
	v_add_f64 v[52:53], v[14:15], v[46:47]
	v_add_f64 v[34:35], v[8:9], v[46:47]
	v_mul_f64 v[8:9], v[20:21], s[4:5]
	v_fma_f64 v[14:15], v[22:23], s[20:21], -v[50:51]
	v_fma_f64 v[42:43], s[28:29], v[32:33], v[30:31]
	v_fma_f64 v[38:39], s[28:29], v[16:17], v[40:41]
	v_fma_f64 v[32:33], v[32:33], s[26:27], -v[10:11]
	v_add_f64 v[44:45], v[44:45], v[12:13]
	v_add_f64 v[54:55], v[4:5], v[12:13]
	v_fma_f64 v[24:25], v[16:17], s[26:27], -v[8:9]
	v_add_f64 v[16:17], v[14:15], v[12:13]
	v_fma_f64 v[22:23], v[48:49], s[4:5], -v[30:31]
	v_fma_f64 v[20:21], v[20:21], s[4:5], -v[40:41]
	;; [unrolled: 1-line block ×3, first 2 shown]
	v_fmac_f64_e32 v[42:43], s[24:25], v[28:29]
	v_fmac_f64_e32 v[38:39], s[24:25], v[36:37]
	;; [unrolled: 1-line block ×6, first 2 shown]
	v_add_f64 v[26:27], v[12:13], v[46:47]
	v_lshl_add_u32 v28, v70, 4, 0
	v_add_f64 v[6:7], v[42:43], v[44:45]
	v_add_f64 v[4:5], v[52:53], -v[38:39]
	v_add_f64 v[10:11], v[32:33], v[54:55]
	v_add_f64 v[8:9], v[34:35], -v[24:25]
	v_add_f64 v[14:15], v[16:17], -v[22:23]
	v_add_f64 v[12:13], v[20:21], v[26:27]
	v_add_f64 v[18:19], v[22:23], v[16:17]
	v_add_f64 v[16:17], v[26:27], -v[20:21]
	v_add_f64 v[22:23], v[54:55], -v[32:33]
	v_add_f64 v[20:21], v[24:25], v[34:35]
	v_add_f64 v[26:27], v[44:45], -v[42:43]
	v_add_f64 v[24:25], v[38:39], v[52:53]
	ds_write_b128 v28, v[0:3] offset:14560
	ds_write_b128 v28, v[24:27] offset:16640
	;; [unrolled: 1-line block ×7, first 2 shown]
.LBB0_27:
	s_or_b64 exec, exec, s[2:3]
	v_accvgpr_read_b32 v0, a0
	v_accvgpr_read_b32 v1, a1
	v_lshl_add_u64 v[0:1], v[0:1], 4, s[8:9]
	s_movk_i32 s2, 0x3000
	v_add_co_u32_e32 v8, vcc, s2, v0
	v_lshl_add_u64 v[16:17], v[60:61], 4, s[8:9]
	s_nop 0
	v_addc_co_u32_e32 v9, vcc, 0, v1, vcc
	s_movk_i32 s2, 0x4000
	v_add_co_u32_e32 v18, vcc, s2, v16
	s_movk_i32 s2, 0x5000
	s_nop 0
	v_addc_co_u32_e32 v19, vcc, 0, v17, vcc
	v_add_co_u32_e32 v20, vcc, s2, v16
	s_movk_i32 s2, 0x6000
	s_nop 0
	v_addc_co_u32_e32 v21, vcc, 0, v17, vcc
	v_add_co_u32_e32 v16, vcc, s2, v16
	s_waitcnt lgkmcnt(0)
	s_nop 0
	v_addc_co_u32_e32 v17, vcc, 0, v17, vcc
	s_barrier
	global_load_dwordx4 v[0:3], v[8:9], off offset:2112
	global_load_dwordx4 v[4:7], v[18:19], off offset:928
	s_nop 0
	global_load_dwordx4 v[8:11], v[18:19], off offset:3840
	global_load_dwordx4 v[12:15], v[20:21], off offset:2656
	s_nop 0
	global_load_dwordx4 v[16:19], v[16:17], off offset:1472
	ds_read_b128 v[20:23], v252
	ds_read_b128 v[24:27], v252 offset:2912
	ds_read_b128 v[28:31], v252 offset:17472
	;; [unrolled: 1-line block ×9, first 2 shown]
	s_waitcnt lgkmcnt(0)
	s_barrier
	s_waitcnt vmcnt(4)
	v_mul_f64 v[66:67], v[46:47], v[2:3]
	v_mul_f64 v[2:3], v[44:45], v[2:3]
	s_waitcnt vmcnt(3)
	v_mul_f64 v[68:69], v[30:31], v[6:7]
	v_mul_f64 v[6:7], v[28:29], v[6:7]
	;; [unrolled: 3-line block ×5, first 2 shown]
	v_fma_f64 v[44:45], v[44:45], v[0:1], -v[66:67]
	v_fmac_f64_e32 v[2:3], v[46:47], v[0:1]
	v_fma_f64 v[28:29], v[28:29], v[4:5], -v[68:69]
	v_fmac_f64_e32 v[6:7], v[30:31], v[4:5]
	;; [unrolled: 2-line block ×5, first 2 shown]
	v_add_f64 v[0:1], v[20:21], -v[44:45]
	v_add_f64 v[2:3], v[22:23], -v[2:3]
	;; [unrolled: 1-line block ×10, first 2 shown]
	v_fma_f64 v[20:21], v[20:21], 2.0, -v[0:1]
	v_fma_f64 v[22:23], v[22:23], 2.0, -v[2:3]
	;; [unrolled: 1-line block ×10, first 2 shown]
	ds_write_b128 v252, v[0:3] offset:14560
	ds_write_b128 v252, v[4:7] offset:17472
	ds_write_b128 v252, v[20:23]
	ds_write_b128 v252, v[24:27] offset:2912
	ds_write_b128 v252, v[28:31] offset:5824
	;; [unrolled: 1-line block ×7, first 2 shown]
	s_waitcnt lgkmcnt(0)
	s_barrier
	s_and_saveexec_b64 s[2:3], s[0:1]
	s_cbranch_execz .LBB0_29
; %bb.28:
	v_mul_lo_u32 v0, s11, v58
	v_mul_lo_u32 v1, s10, v59
	v_mad_u64_u32 v[4:5], s[0:1], s10, v58, 0
	v_lshl_add_u32 v12, v60, 4, 0
	v_add3_u32 v5, v5, v1, v0
	ds_read_b128 v[0:3], v12
	v_lshl_add_u64 v[4:5], v[4:5], 4, s[6:7]
	v_lshl_add_u64 v[8:9], v[56:57], 4, v[4:5]
	ds_read_b128 v[4:7], v12 offset:2912
	v_mov_b32_e32 v61, 0
	v_lshl_add_u64 v[10:11], v[60:61], 4, v[8:9]
	s_waitcnt lgkmcnt(1)
	global_store_dwordx4 v[10:11], v[0:3], off
	s_nop 1
	v_add_u32_e32 v0, 0xb6, v60
	v_mov_b32_e32 v1, v61
	v_lshl_add_u64 v[0:1], v[0:1], 4, v[8:9]
	s_waitcnt lgkmcnt(0)
	global_store_dwordx4 v[0:1], v[4:7], off
	ds_read_b128 v[0:3], v12 offset:5824
	s_nop 0
	v_add_u32_e32 v4, 0x16c, v60
	v_mov_b32_e32 v5, v61
	v_lshl_add_u64 v[10:11], v[4:5], 4, v[8:9]
	ds_read_b128 v[4:7], v12 offset:8736
	s_waitcnt lgkmcnt(1)
	global_store_dwordx4 v[10:11], v[0:3], off
	s_nop 1
	v_add_u32_e32 v0, 0x222, v60
	v_mov_b32_e32 v1, v61
	v_lshl_add_u64 v[0:1], v[0:1], 4, v[8:9]
	s_waitcnt lgkmcnt(0)
	global_store_dwordx4 v[0:1], v[4:7], off
	ds_read_b128 v[0:3], v12 offset:11648
	s_nop 0
	v_add_u32_e32 v4, 0x2d8, v60
	v_mov_b32_e32 v5, v61
	v_lshl_add_u64 v[10:11], v[4:5], 4, v[8:9]
	ds_read_b128 v[4:7], v12 offset:14560
	;; [unrolled: 14-line block ×3, first 2 shown]
	s_waitcnt lgkmcnt(1)
	global_store_dwordx4 v[10:11], v[0:3], off
	v_add_u32_e32 v10, 0x5b0, v60
	v_mov_b32_e32 v11, v61
	v_add_u32_e32 v0, 0x4fa, v60
	v_mov_b32_e32 v1, v61
	v_lshl_add_u64 v[0:1], v[0:1], 4, v[8:9]
	s_waitcnt lgkmcnt(0)
	global_store_dwordx4 v[0:1], v[4:7], off
	ds_read_b128 v[0:3], v12 offset:23296
	ds_read_b128 v[4:7], v12 offset:26208
	v_lshl_add_u64 v[10:11], v[10:11], 4, v[8:9]
	v_add_u32_e32 v60, 0x666, v60
	s_waitcnt lgkmcnt(1)
	global_store_dwordx4 v[10:11], v[0:3], off
	s_nop 1
	v_lshl_add_u64 v[0:1], v[60:61], 4, v[8:9]
	s_waitcnt lgkmcnt(0)
	global_store_dwordx4 v[0:1], v[4:7], off
.LBB0_29:
	s_endpgm
	.section	.rodata,"a",@progbits
	.p2align	6, 0x0
	.amdhsa_kernel fft_rtc_fwd_len1820_factors_10_13_7_2_wgs_182_tpt_182_halfLds_dp_op_CI_CI_unitstride_sbrr_C2R_dirReg
		.amdhsa_group_segment_fixed_size 0
		.amdhsa_private_segment_fixed_size 0
		.amdhsa_kernarg_size 104
		.amdhsa_user_sgpr_count 2
		.amdhsa_user_sgpr_dispatch_ptr 0
		.amdhsa_user_sgpr_queue_ptr 0
		.amdhsa_user_sgpr_kernarg_segment_ptr 1
		.amdhsa_user_sgpr_dispatch_id 0
		.amdhsa_user_sgpr_kernarg_preload_length 0
		.amdhsa_user_sgpr_kernarg_preload_offset 0
		.amdhsa_user_sgpr_private_segment_size 0
		.amdhsa_uses_dynamic_stack 0
		.amdhsa_enable_private_segment 0
		.amdhsa_system_sgpr_workgroup_id_x 1
		.amdhsa_system_sgpr_workgroup_id_y 0
		.amdhsa_system_sgpr_workgroup_id_z 0
		.amdhsa_system_sgpr_workgroup_info 0
		.amdhsa_system_vgpr_workitem_id 0
		.amdhsa_next_free_vgpr 259
		.amdhsa_next_free_sgpr 40
		.amdhsa_accum_offset 256
		.amdhsa_reserve_vcc 1
		.amdhsa_float_round_mode_32 0
		.amdhsa_float_round_mode_16_64 0
		.amdhsa_float_denorm_mode_32 3
		.amdhsa_float_denorm_mode_16_64 3
		.amdhsa_dx10_clamp 1
		.amdhsa_ieee_mode 1
		.amdhsa_fp16_overflow 0
		.amdhsa_tg_split 0
		.amdhsa_exception_fp_ieee_invalid_op 0
		.amdhsa_exception_fp_denorm_src 0
		.amdhsa_exception_fp_ieee_div_zero 0
		.amdhsa_exception_fp_ieee_overflow 0
		.amdhsa_exception_fp_ieee_underflow 0
		.amdhsa_exception_fp_ieee_inexact 0
		.amdhsa_exception_int_div_zero 0
	.end_amdhsa_kernel
	.text
.Lfunc_end0:
	.size	fft_rtc_fwd_len1820_factors_10_13_7_2_wgs_182_tpt_182_halfLds_dp_op_CI_CI_unitstride_sbrr_C2R_dirReg, .Lfunc_end0-fft_rtc_fwd_len1820_factors_10_13_7_2_wgs_182_tpt_182_halfLds_dp_op_CI_CI_unitstride_sbrr_C2R_dirReg
                                        ; -- End function
	.section	.AMDGPU.csdata,"",@progbits
; Kernel info:
; codeLenInByte = 12216
; NumSgprs: 46
; NumVgprs: 256
; NumAgprs: 3
; TotalNumVgprs: 259
; ScratchSize: 0
; MemoryBound: 0
; FloatMode: 240
; IeeeMode: 1
; LDSByteSize: 0 bytes/workgroup (compile time only)
; SGPRBlocks: 5
; VGPRBlocks: 32
; NumSGPRsForWavesPerEU: 46
; NumVGPRsForWavesPerEU: 259
; AccumOffset: 256
; Occupancy: 1
; WaveLimiterHint : 1
; COMPUTE_PGM_RSRC2:SCRATCH_EN: 0
; COMPUTE_PGM_RSRC2:USER_SGPR: 2
; COMPUTE_PGM_RSRC2:TRAP_HANDLER: 0
; COMPUTE_PGM_RSRC2:TGID_X_EN: 1
; COMPUTE_PGM_RSRC2:TGID_Y_EN: 0
; COMPUTE_PGM_RSRC2:TGID_Z_EN: 0
; COMPUTE_PGM_RSRC2:TIDIG_COMP_CNT: 0
; COMPUTE_PGM_RSRC3_GFX90A:ACCUM_OFFSET: 63
; COMPUTE_PGM_RSRC3_GFX90A:TG_SPLIT: 0
	.text
	.p2alignl 6, 3212836864
	.fill 256, 4, 3212836864
	.type	__hip_cuid_8fee5965aba5e17b,@object ; @__hip_cuid_8fee5965aba5e17b
	.section	.bss,"aw",@nobits
	.globl	__hip_cuid_8fee5965aba5e17b
__hip_cuid_8fee5965aba5e17b:
	.byte	0                               ; 0x0
	.size	__hip_cuid_8fee5965aba5e17b, 1

	.ident	"AMD clang version 19.0.0git (https://github.com/RadeonOpenCompute/llvm-project roc-6.4.0 25133 c7fe45cf4b819c5991fe208aaa96edf142730f1d)"
	.section	".note.GNU-stack","",@progbits
	.addrsig
	.addrsig_sym __hip_cuid_8fee5965aba5e17b
	.amdgpu_metadata
---
amdhsa.kernels:
  - .agpr_count:     3
    .args:
      - .actual_access:  read_only
        .address_space:  global
        .offset:         0
        .size:           8
        .value_kind:     global_buffer
      - .offset:         8
        .size:           8
        .value_kind:     by_value
      - .actual_access:  read_only
        .address_space:  global
        .offset:         16
        .size:           8
        .value_kind:     global_buffer
      - .actual_access:  read_only
        .address_space:  global
        .offset:         24
        .size:           8
        .value_kind:     global_buffer
      - .actual_access:  read_only
        .address_space:  global
        .offset:         32
        .size:           8
        .value_kind:     global_buffer
      - .offset:         40
        .size:           8
        .value_kind:     by_value
      - .actual_access:  read_only
        .address_space:  global
        .offset:         48
        .size:           8
        .value_kind:     global_buffer
      - .actual_access:  read_only
        .address_space:  global
        .offset:         56
        .size:           8
        .value_kind:     global_buffer
      - .offset:         64
        .size:           4
        .value_kind:     by_value
      - .actual_access:  read_only
        .address_space:  global
        .offset:         72
        .size:           8
        .value_kind:     global_buffer
      - .actual_access:  read_only
        .address_space:  global
        .offset:         80
        .size:           8
        .value_kind:     global_buffer
      - .actual_access:  read_only
        .address_space:  global
        .offset:         88
        .size:           8
        .value_kind:     global_buffer
      - .actual_access:  write_only
        .address_space:  global
        .offset:         96
        .size:           8
        .value_kind:     global_buffer
    .group_segment_fixed_size: 0
    .kernarg_segment_align: 8
    .kernarg_segment_size: 104
    .language:       OpenCL C
    .language_version:
      - 2
      - 0
    .max_flat_workgroup_size: 182
    .name:           fft_rtc_fwd_len1820_factors_10_13_7_2_wgs_182_tpt_182_halfLds_dp_op_CI_CI_unitstride_sbrr_C2R_dirReg
    .private_segment_fixed_size: 0
    .sgpr_count:     46
    .sgpr_spill_count: 0
    .symbol:         fft_rtc_fwd_len1820_factors_10_13_7_2_wgs_182_tpt_182_halfLds_dp_op_CI_CI_unitstride_sbrr_C2R_dirReg.kd
    .uniform_work_group_size: 1
    .uses_dynamic_stack: false
    .vgpr_count:     259
    .vgpr_spill_count: 0
    .wavefront_size: 64
amdhsa.target:   amdgcn-amd-amdhsa--gfx950
amdhsa.version:
  - 1
  - 2
...

	.end_amdgpu_metadata
